;; amdgpu-corpus repo=ROCm/rocFFT kind=compiled arch=gfx906 opt=O3
	.text
	.amdgcn_target "amdgcn-amd-amdhsa--gfx906"
	.amdhsa_code_object_version 6
	.protected	fft_rtc_fwd_len605_factors_11_5_11_wgs_55_tpt_55_sp_op_CI_CI_sbrr_dirReg ; -- Begin function fft_rtc_fwd_len605_factors_11_5_11_wgs_55_tpt_55_sp_op_CI_CI_sbrr_dirReg
	.globl	fft_rtc_fwd_len605_factors_11_5_11_wgs_55_tpt_55_sp_op_CI_CI_sbrr_dirReg
	.p2align	8
	.type	fft_rtc_fwd_len605_factors_11_5_11_wgs_55_tpt_55_sp_op_CI_CI_sbrr_dirReg,@function
fft_rtc_fwd_len605_factors_11_5_11_wgs_55_tpt_55_sp_op_CI_CI_sbrr_dirReg: ; @fft_rtc_fwd_len605_factors_11_5_11_wgs_55_tpt_55_sp_op_CI_CI_sbrr_dirReg
; %bb.0:
	s_load_dwordx4 s[16:19], s[4:5], 0x18
	s_load_dwordx4 s[12:15], s[4:5], 0x0
	;; [unrolled: 1-line block ×3, first 2 shown]
	v_mul_u32_u24_e32 v1, 0x4a8, v0
	v_add_u32_sdwa v6, s6, v1 dst_sel:DWORD dst_unused:UNUSED_PAD src0_sel:DWORD src1_sel:WORD_1
	s_waitcnt lgkmcnt(0)
	s_load_dwordx2 s[20:21], s[16:17], 0x0
	s_load_dwordx2 s[2:3], s[18:19], 0x0
	v_cmp_lt_u64_e64 s[0:1], s[14:15], 2
	v_mov_b32_e32 v1, 0
	v_mov_b32_e32 v4, 0
	;; [unrolled: 1-line block ×3, first 2 shown]
	s_and_b64 vcc, exec, s[0:1]
	v_mov_b32_e32 v5, 0
	s_cbranch_vccnz .LBB0_8
; %bb.1:
	s_load_dwordx2 s[0:1], s[4:5], 0x10
	s_add_u32 s6, s18, 8
	s_addc_u32 s7, s19, 0
	s_add_u32 s22, s16, 8
	v_mov_b32_e32 v4, 0
	s_addc_u32 s23, s17, 0
	v_mov_b32_e32 v5, 0
	s_waitcnt lgkmcnt(0)
	s_add_u32 s24, s0, 8
	v_mov_b32_e32 v25, v5
	s_addc_u32 s25, s1, 0
	s_mov_b64 s[26:27], 1
	v_mov_b32_e32 v24, v4
.LBB0_2:                                ; =>This Inner Loop Header: Depth=1
	s_load_dwordx2 s[28:29], s[24:25], 0x0
                                        ; implicit-def: $vgpr26_vgpr27
	s_waitcnt lgkmcnt(0)
	v_or_b32_e32 v2, s29, v7
	v_cmp_ne_u64_e32 vcc, 0, v[1:2]
	s_and_saveexec_b64 s[0:1], vcc
	s_xor_b64 s[30:31], exec, s[0:1]
	s_cbranch_execz .LBB0_4
; %bb.3:                                ;   in Loop: Header=BB0_2 Depth=1
	v_cvt_f32_u32_e32 v2, s28
	v_cvt_f32_u32_e32 v3, s29
	s_sub_u32 s0, 0, s28
	s_subb_u32 s1, 0, s29
	v_mac_f32_e32 v2, 0x4f800000, v3
	v_rcp_f32_e32 v2, v2
	v_mul_f32_e32 v2, 0x5f7ffffc, v2
	v_mul_f32_e32 v3, 0x2f800000, v2
	v_trunc_f32_e32 v3, v3
	v_mac_f32_e32 v2, 0xcf800000, v3
	v_cvt_u32_f32_e32 v3, v3
	v_cvt_u32_f32_e32 v2, v2
	v_mul_lo_u32 v8, s0, v3
	v_mul_hi_u32 v9, s0, v2
	v_mul_lo_u32 v11, s1, v2
	v_mul_lo_u32 v10, s0, v2
	v_add_u32_e32 v8, v9, v8
	v_add_u32_e32 v8, v8, v11
	v_mul_hi_u32 v9, v2, v10
	v_mul_lo_u32 v11, v2, v8
	v_mul_hi_u32 v13, v2, v8
	v_mul_hi_u32 v12, v3, v10
	v_mul_lo_u32 v10, v3, v10
	v_mul_hi_u32 v14, v3, v8
	v_add_co_u32_e32 v9, vcc, v9, v11
	v_addc_co_u32_e32 v11, vcc, 0, v13, vcc
	v_mul_lo_u32 v8, v3, v8
	v_add_co_u32_e32 v9, vcc, v9, v10
	v_addc_co_u32_e32 v9, vcc, v11, v12, vcc
	v_addc_co_u32_e32 v10, vcc, 0, v14, vcc
	v_add_co_u32_e32 v8, vcc, v9, v8
	v_addc_co_u32_e32 v9, vcc, 0, v10, vcc
	v_add_co_u32_e32 v2, vcc, v2, v8
	v_addc_co_u32_e32 v3, vcc, v3, v9, vcc
	v_mul_lo_u32 v8, s0, v3
	v_mul_hi_u32 v9, s0, v2
	v_mul_lo_u32 v10, s1, v2
	v_mul_lo_u32 v11, s0, v2
	v_add_u32_e32 v8, v9, v8
	v_add_u32_e32 v8, v8, v10
	v_mul_lo_u32 v12, v2, v8
	v_mul_hi_u32 v13, v2, v11
	v_mul_hi_u32 v14, v2, v8
	;; [unrolled: 1-line block ×3, first 2 shown]
	v_mul_lo_u32 v11, v3, v11
	v_mul_hi_u32 v9, v3, v8
	v_add_co_u32_e32 v12, vcc, v13, v12
	v_addc_co_u32_e32 v13, vcc, 0, v14, vcc
	v_mul_lo_u32 v8, v3, v8
	v_add_co_u32_e32 v11, vcc, v12, v11
	v_addc_co_u32_e32 v10, vcc, v13, v10, vcc
	v_addc_co_u32_e32 v9, vcc, 0, v9, vcc
	v_add_co_u32_e32 v8, vcc, v10, v8
	v_addc_co_u32_e32 v9, vcc, 0, v9, vcc
	v_add_co_u32_e32 v8, vcc, v2, v8
	v_addc_co_u32_e32 v9, vcc, v3, v9, vcc
	v_mad_u64_u32 v[2:3], s[0:1], v6, v9, 0
	v_mul_hi_u32 v10, v6, v8
	v_add_co_u32_e32 v10, vcc, v10, v2
	v_addc_co_u32_e32 v11, vcc, 0, v3, vcc
	v_mad_u64_u32 v[2:3], s[0:1], v7, v8, 0
	v_mad_u64_u32 v[8:9], s[0:1], v7, v9, 0
	v_add_co_u32_e32 v2, vcc, v10, v2
	v_addc_co_u32_e32 v2, vcc, v11, v3, vcc
	v_addc_co_u32_e32 v3, vcc, 0, v9, vcc
	v_add_co_u32_e32 v8, vcc, v2, v8
	v_addc_co_u32_e32 v9, vcc, 0, v3, vcc
	v_mul_lo_u32 v10, s29, v8
	v_mul_lo_u32 v11, s28, v9
	v_mad_u64_u32 v[2:3], s[0:1], s28, v8, 0
	v_add3_u32 v3, v3, v11, v10
	v_sub_u32_e32 v10, v7, v3
	v_mov_b32_e32 v11, s29
	v_sub_co_u32_e32 v2, vcc, v6, v2
	v_subb_co_u32_e64 v10, s[0:1], v10, v11, vcc
	v_subrev_co_u32_e64 v11, s[0:1], s28, v2
	v_subbrev_co_u32_e64 v10, s[0:1], 0, v10, s[0:1]
	v_cmp_le_u32_e64 s[0:1], s29, v10
	v_cndmask_b32_e64 v12, 0, -1, s[0:1]
	v_cmp_le_u32_e64 s[0:1], s28, v11
	v_cndmask_b32_e64 v11, 0, -1, s[0:1]
	v_cmp_eq_u32_e64 s[0:1], s29, v10
	v_cndmask_b32_e64 v10, v12, v11, s[0:1]
	v_add_co_u32_e64 v11, s[0:1], 2, v8
	v_addc_co_u32_e64 v12, s[0:1], 0, v9, s[0:1]
	v_add_co_u32_e64 v13, s[0:1], 1, v8
	v_addc_co_u32_e64 v14, s[0:1], 0, v9, s[0:1]
	v_subb_co_u32_e32 v3, vcc, v7, v3, vcc
	v_cmp_ne_u32_e64 s[0:1], 0, v10
	v_cmp_le_u32_e32 vcc, s29, v3
	v_cndmask_b32_e64 v10, v14, v12, s[0:1]
	v_cndmask_b32_e64 v12, 0, -1, vcc
	v_cmp_le_u32_e32 vcc, s28, v2
	v_cndmask_b32_e64 v2, 0, -1, vcc
	v_cmp_eq_u32_e32 vcc, s29, v3
	v_cndmask_b32_e32 v2, v12, v2, vcc
	v_cmp_ne_u32_e32 vcc, 0, v2
	v_cndmask_b32_e64 v2, v13, v11, s[0:1]
	v_cndmask_b32_e32 v27, v9, v10, vcc
	v_cndmask_b32_e32 v26, v8, v2, vcc
.LBB0_4:                                ;   in Loop: Header=BB0_2 Depth=1
	s_andn2_saveexec_b64 s[0:1], s[30:31]
	s_cbranch_execz .LBB0_6
; %bb.5:                                ;   in Loop: Header=BB0_2 Depth=1
	v_cvt_f32_u32_e32 v2, s28
	s_sub_i32 s30, 0, s28
	v_mov_b32_e32 v27, v1
	v_rcp_iflag_f32_e32 v2, v2
	v_mul_f32_e32 v2, 0x4f7ffffe, v2
	v_cvt_u32_f32_e32 v2, v2
	v_mul_lo_u32 v3, s30, v2
	v_mul_hi_u32 v3, v2, v3
	v_add_u32_e32 v2, v2, v3
	v_mul_hi_u32 v2, v6, v2
	v_mul_lo_u32 v3, v2, s28
	v_add_u32_e32 v8, 1, v2
	v_sub_u32_e32 v3, v6, v3
	v_subrev_u32_e32 v9, s28, v3
	v_cmp_le_u32_e32 vcc, s28, v3
	v_cndmask_b32_e32 v3, v3, v9, vcc
	v_cndmask_b32_e32 v2, v2, v8, vcc
	v_add_u32_e32 v8, 1, v2
	v_cmp_le_u32_e32 vcc, s28, v3
	v_cndmask_b32_e32 v26, v2, v8, vcc
.LBB0_6:                                ;   in Loop: Header=BB0_2 Depth=1
	s_or_b64 exec, exec, s[0:1]
	v_mul_lo_u32 v8, v27, s28
	v_mul_lo_u32 v9, v26, s29
	v_mad_u64_u32 v[2:3], s[0:1], v26, s28, 0
	s_load_dwordx2 s[0:1], s[22:23], 0x0
	s_load_dwordx2 s[28:29], s[6:7], 0x0
	v_add3_u32 v3, v3, v9, v8
	v_sub_co_u32_e32 v2, vcc, v6, v2
	v_subb_co_u32_e32 v3, vcc, v7, v3, vcc
	s_waitcnt lgkmcnt(0)
	v_mul_lo_u32 v6, s0, v3
	v_mul_lo_u32 v7, s1, v2
	v_mad_u64_u32 v[4:5], s[0:1], s0, v2, v[4:5]
	v_mul_lo_u32 v3, s28, v3
	v_mul_lo_u32 v8, s29, v2
	v_mad_u64_u32 v[24:25], s[0:1], s28, v2, v[24:25]
	s_add_u32 s26, s26, 1
	s_addc_u32 s27, s27, 0
	s_add_u32 s6, s6, 8
	v_add3_u32 v25, v8, v25, v3
	s_addc_u32 s7, s7, 0
	v_mov_b32_e32 v2, s14
	s_add_u32 s22, s22, 8
	v_mov_b32_e32 v3, s15
	s_addc_u32 s23, s23, 0
	v_cmp_ge_u64_e32 vcc, s[26:27], v[2:3]
	s_add_u32 s24, s24, 8
	v_add3_u32 v5, v7, v5, v6
	s_addc_u32 s25, s25, 0
	s_cbranch_vccnz .LBB0_9
; %bb.7:                                ;   in Loop: Header=BB0_2 Depth=1
	v_mov_b32_e32 v6, v26
	v_mov_b32_e32 v7, v27
	s_branch .LBB0_2
.LBB0_8:
	v_mov_b32_e32 v25, v5
	v_mov_b32_e32 v27, v7
	;; [unrolled: 1-line block ×4, first 2 shown]
.LBB0_9:
	s_load_dwordx2 s[0:1], s[4:5], 0x28
	s_lshl_b64 s[14:15], s[14:15], 3
	s_add_u32 s4, s18, s14
	s_addc_u32 s5, s19, s15
                                        ; implicit-def: $sgpr18_sgpr19
                                        ; implicit-def: $sgpr22
                                        ; implicit-def: $vgpr35
                                        ; implicit-def: $vgpr37
                                        ; implicit-def: $vgpr36
	s_waitcnt lgkmcnt(0)
	v_cmp_gt_u64_e32 vcc, s[0:1], v[26:27]
	v_cmp_le_u64_e64 s[0:1], s[0:1], v[26:27]
	s_and_saveexec_b64 s[6:7], s[0:1]
	s_xor_b64 s[0:1], exec, s[6:7]
; %bb.10:
	s_mov_b32 s6, 0x4a7904b
	v_mul_hi_u32 v1, v0, s6
	s_mov_b32 s22, 0
	s_mov_b64 s[18:19], 0
                                        ; implicit-def: $vgpr4_vgpr5
	v_mul_u32_u24_e32 v1, 55, v1
	v_sub_u32_e32 v35, v0, v1
	v_add_u32_e32 v37, 55, v35
	v_add_u32_e32 v36, 0x6e, v35
                                        ; implicit-def: $vgpr0
; %bb.11:
	s_or_saveexec_b64 s[6:7], s[0:1]
	v_mov_b32_e32 v2, s18
	v_mov_b32_e32 v34, s22
	;; [unrolled: 1-line block ×3, first 2 shown]
                                        ; implicit-def: $vgpr22
                                        ; implicit-def: $vgpr18
                                        ; implicit-def: $vgpr14
                                        ; implicit-def: $vgpr10
                                        ; implicit-def: $vgpr6
                                        ; implicit-def: $vgpr29
                                        ; implicit-def: $vgpr20
                                        ; implicit-def: $vgpr16
                                        ; implicit-def: $vgpr12
                                        ; implicit-def: $vgpr8
	s_xor_b64 exec, exec, s[6:7]
	s_cbranch_execz .LBB0_13
; %bb.12:
	s_add_u32 s0, s16, s14
	s_mov_b32 s14, 0x4a7904b
	s_addc_u32 s1, s17, s15
	v_mul_hi_u32 v1, v0, s14
	s_load_dwordx2 s[0:1], s[0:1], 0x0
	v_mul_u32_u24_e32 v1, 55, v1
	v_sub_u32_e32 v35, v0, v1
	s_waitcnt lgkmcnt(0)
	v_mul_lo_u32 v8, s1, v26
	v_mad_u64_u32 v[0:1], s[14:15], s20, v35, 0
	v_mul_lo_u32 v9, s0, v27
	v_mad_u64_u32 v[2:3], s[0:1], s0, v26, 0
	v_add_u32_e32 v37, 55, v35
	v_add_u32_e32 v36, 0x6e, v35
	v_mad_u64_u32 v[6:7], s[0:1], s21, v35, v[1:2]
	v_add3_u32 v3, v3, v9, v8
	v_lshlrev_b64 v[2:3], 3, v[2:3]
	v_mov_b32_e32 v1, v6
	v_mov_b32_e32 v6, s9
	v_add_co_u32_e64 v7, s[0:1], s8, v2
	v_addc_co_u32_e64 v6, s[0:1], v6, v3, s[0:1]
	v_lshlrev_b64 v[2:3], 3, v[4:5]
	v_mad_u64_u32 v[4:5], s[0:1], s20, v37, 0
	v_add_co_u32_e64 v10, s[0:1], v7, v2
	v_mov_b32_e32 v2, v5
	v_addc_co_u32_e64 v11, s[0:1], v6, v3, s[0:1]
	v_mad_u64_u32 v[2:3], s[0:1], s21, v37, v[2:3]
	v_mad_u64_u32 v[6:7], s[0:1], s20, v36, 0
	v_lshlrev_b64 v[0:1], 3, v[0:1]
	v_mov_b32_e32 v5, v2
	v_add_co_u32_e64 v0, s[0:1], v10, v0
	v_lshlrev_b64 v[2:3], 3, v[4:5]
	v_mov_b32_e32 v4, v7
	v_addc_co_u32_e64 v1, s[0:1], v11, v1, s[0:1]
	v_mad_u64_u32 v[4:5], s[0:1], s21, v36, v[4:5]
	v_add_u32_e32 v5, 0xa5, v35
	v_mad_u64_u32 v[8:9], s[0:1], s20, v5, 0
	v_add_co_u32_e64 v30, s[0:1], v10, v2
	v_mov_b32_e32 v7, v4
	v_mov_b32_e32 v4, v9
	v_addc_co_u32_e64 v31, s[0:1], v11, v3, s[0:1]
	v_lshlrev_b64 v[2:3], 3, v[6:7]
	v_mad_u64_u32 v[4:5], s[0:1], s21, v5, v[4:5]
	v_add_u32_e32 v7, 0xdc, v35
	v_mad_u64_u32 v[5:6], s[0:1], s20, v7, 0
	v_add_co_u32_e64 v32, s[0:1], v10, v2
	v_mov_b32_e32 v9, v4
	v_mov_b32_e32 v4, v6
	v_addc_co_u32_e64 v33, s[0:1], v11, v3, s[0:1]
	v_lshlrev_b64 v[2:3], 3, v[8:9]
	v_mad_u64_u32 v[6:7], s[0:1], s21, v7, v[4:5]
	v_add_u32_e32 v9, 0x113, v35
	v_mad_u64_u32 v[7:8], s[0:1], s20, v9, 0
	v_add_co_u32_e64 v38, s[0:1], v10, v2
	v_mov_b32_e32 v4, v8
	v_addc_co_u32_e64 v39, s[0:1], v11, v3, s[0:1]
	v_lshlrev_b64 v[2:3], 3, v[5:6]
	v_mad_u64_u32 v[4:5], s[0:1], s21, v9, v[4:5]
	v_add_u32_e32 v9, 0x14a, v35
	v_mad_u64_u32 v[5:6], s[0:1], s20, v9, 0
	v_add_co_u32_e64 v40, s[0:1], v10, v2
	v_mov_b32_e32 v8, v4
	v_mov_b32_e32 v4, v6
	v_addc_co_u32_e64 v41, s[0:1], v11, v3, s[0:1]
	v_lshlrev_b64 v[2:3], 3, v[7:8]
	v_mad_u64_u32 v[6:7], s[0:1], s21, v9, v[4:5]
	v_add_u32_e32 v9, 0x181, v35
	v_mad_u64_u32 v[7:8], s[0:1], s20, v9, 0
	v_add_co_u32_e64 v42, s[0:1], v10, v2
	;; [unrolled: 15-line block ×3, first 2 shown]
	v_mov_b32_e32 v4, v8
	v_addc_co_u32_e64 v47, s[0:1], v11, v3, s[0:1]
	v_lshlrev_b64 v[2:3], 3, v[5:6]
	v_mad_u64_u32 v[4:5], s[0:1], s21, v9, v[4:5]
	v_add_u32_e32 v9, 0x226, v35
	v_mad_u64_u32 v[5:6], s[0:1], s20, v9, 0
	v_add_co_u32_e64 v48, s[0:1], v10, v2
	v_mov_b32_e32 v8, v4
	v_mov_b32_e32 v4, v6
	v_addc_co_u32_e64 v49, s[0:1], v11, v3, s[0:1]
	v_lshlrev_b64 v[2:3], 3, v[7:8]
	v_mad_u64_u32 v[6:7], s[0:1], s21, v9, v[4:5]
	v_add_co_u32_e64 v50, s[0:1], v10, v2
	v_addc_co_u32_e64 v51, s[0:1], v11, v3, s[0:1]
	v_lshlrev_b64 v[2:3], 3, v[5:6]
	v_mov_b32_e32 v34, v35
	v_add_co_u32_e64 v52, s[0:1], v10, v2
	v_addc_co_u32_e64 v53, s[0:1], v11, v3, s[0:1]
	global_load_dwordx2 v[2:3], v[0:1], off
	global_load_dwordx2 v[21:22], v[30:31], off
	;; [unrolled: 1-line block ×11, first 2 shown]
.LBB0_13:
	s_or_b64 exec, exec, s[6:7]
	s_waitcnt vmcnt(9)
	v_add_f32_e32 v0, v21, v2
	v_add_f32_e32 v1, v22, v3
	s_waitcnt vmcnt(8)
	v_add_f32_e32 v0, v17, v0
	v_add_f32_e32 v1, v18, v1
	;; [unrolled: 3-line block ×8, first 2 shown]
	s_waitcnt vmcnt(1)
	v_add_f32_e32 v0, v19, v0
	s_waitcnt vmcnt(0)
	v_add_f32_e32 v4, v21, v28
	v_add_f32_e32 v1, v20, v1
	;; [unrolled: 1-line block ×3, first 2 shown]
	v_sub_f32_e32 v21, v21, v28
	v_mul_f32_e32 v28, 0x3f575c64, v4
	v_add_f32_e32 v31, v18, v20
	v_sub_f32_e32 v18, v18, v20
	v_add_f32_e32 v20, v14, v16
	v_sub_f32_e32 v14, v14, v16
	;; [unrolled: 2-line block ×4, first 2 shown]
	v_mul_f32_e32 v5, 0x3ed4b147, v4
	v_mul_f32_e32 v7, 0xbe11bafb, v4
	;; [unrolled: 1-line block ×4, first 2 shown]
	v_add_f32_e32 v1, v29, v1
	v_add_f32_e32 v23, v22, v29
	v_sub_f32_e32 v22, v22, v29
	v_mov_b32_e32 v29, v28
	v_add_f32_e32 v32, v10, v12
	v_sub_f32_e32 v38, v10, v12
	v_add_f32_e32 v40, v6, v8
	v_sub_f32_e32 v42, v6, v8
	v_mov_b32_e32 v6, v5
	v_mov_b32_e32 v8, v7
	;; [unrolled: 1-line block ×4, first 2 shown]
	v_fmac_f32_e32 v29, 0x3f0a6770, v22
	v_fmac_f32_e32 v28, 0xbf0a6770, v22
	v_add_f32_e32 v30, v17, v19
	v_fmac_f32_e32 v6, 0x3f68dda4, v22
	v_fmac_f32_e32 v5, 0xbf68dda4, v22
	;; [unrolled: 1-line block ×8, first 2 shown]
	v_mul_f32_e32 v12, 0xbf0a6770, v21
	v_mul_f32_e32 v22, 0xbf68dda4, v21
	v_mul_f32_e32 v44, 0xbf7d64f0, v21
	v_mul_f32_e32 v46, 0xbf4178ce, v21
	v_mul_f32_e32 v21, 0xbe903f40, v21
	v_sub_f32_e32 v17, v17, v19
	v_add_f32_e32 v19, v13, v15
	v_sub_f32_e32 v15, v13, v15
	s_mov_b32 s6, 0x3f575c64
	v_mov_b32_e32 v13, v12
	s_mov_b32 s1, 0x3ed4b147
	v_mov_b32_e32 v43, v22
	;; [unrolled: 2-line block ×5, first 2 shown]
	v_add_f32_e32 v54, v4, v2
	v_mul_f32_e32 v4, 0x3ed4b147, v30
	v_fmac_f32_e32 v13, 0x3f575c64, v23
	v_fma_f32 v12, v23, s6, -v12
	v_fmac_f32_e32 v43, 0x3ed4b147, v23
	v_fma_f32 v22, v23, s1, -v22
	;; [unrolled: 2-line block ×5, first 2 shown]
	v_add_f32_e32 v23, v29, v2
	v_add_f32_e32 v28, v28, v2
	;; [unrolled: 1-line block ×9, first 2 shown]
	v_mov_b32_e32 v2, v4
	v_mul_f32_e32 v7, 0xbe11bafb, v19
	v_fmac_f32_e32 v2, 0x3f68dda4, v18
	v_mov_b32_e32 v9, v7
	v_add_f32_e32 v2, v2, v23
	v_mul_f32_e32 v5, 0xbf68dda4, v17
	v_fmac_f32_e32 v9, 0x3f7d64f0, v14
	v_add_f32_e32 v13, v13, v3
	v_add_f32_e32 v12, v12, v3
	v_add_f32_e32 v43, v43, v3
	v_add_f32_e32 v22, v22, v3
	v_add_f32_e32 v45, v45, v3
	v_add_f32_e32 v44, v44, v3
	v_add_f32_e32 v47, v47, v3
	v_add_f32_e32 v46, v46, v3
	v_add_f32_e32 v48, v48, v3
	v_add_f32_e32 v21, v21, v3
	v_mov_b32_e32 v3, v5
	v_add_f32_e32 v2, v9, v2
	v_mul_f32_e32 v9, 0xbf7d64f0, v15
	v_fmac_f32_e32 v3, 0x3ed4b147, v31
	v_mov_b32_e32 v10, v9
	v_add_f32_e32 v3, v3, v13
	v_fmac_f32_e32 v10, 0xbe11bafb, v20
	v_add_f32_e32 v3, v10, v3
	v_mul_f32_e32 v10, 0xbf27a4f4, v16
	v_mov_b32_e32 v11, v10
	v_fmac_f32_e32 v11, 0x3f4178ce, v38
	v_add_f32_e32 v2, v11, v2
	v_mul_f32_e32 v11, 0xbf4178ce, v33
	v_mov_b32_e32 v13, v11
	;; [unrolled: 4-line block ×3, first 2 shown]
	v_fmac_f32_e32 v4, 0xbf68dda4, v18
	v_fmac_f32_e32 v23, 0x3e903f40, v42
	v_add_f32_e32 v4, v4, v28
	v_fma_f32 v5, v31, s1, -v5
	v_fmac_f32_e32 v7, 0xbf7d64f0, v14
	v_add_f32_e32 v2, v23, v2
	v_mul_f32_e32 v23, 0xbe903f40, v41
	v_add_f32_e32 v5, v5, v12
	v_add_f32_e32 v4, v7, v4
	v_fma_f32 v7, v20, s0, -v9
	v_fmac_f32_e32 v10, 0xbf4178ce, v38
	v_mov_b32_e32 v29, v23
	v_add_f32_e32 v5, v7, v5
	v_add_f32_e32 v4, v10, v4
	v_fma_f32 v7, v32, s7, -v11
	v_fmac_f32_e32 v13, 0xbe903f40, v42
	v_fmac_f32_e32 v29, 0xbf75a155, v40
	v_add_f32_e32 v5, v7, v5
	v_add_f32_e32 v28, v13, v4
	v_fma_f32 v4, v40, s8, -v23
	v_mul_f32_e32 v7, 0xbf27a4f4, v30
	v_add_f32_e32 v3, v29, v3
	v_add_f32_e32 v29, v4, v5
	v_mov_b32_e32 v4, v7
	v_mul_f32_e32 v9, 0xbf75a155, v19
	v_fmac_f32_e32 v4, 0x3f4178ce, v18
	v_mov_b32_e32 v10, v9
	v_add_f32_e32 v4, v4, v6
	v_mul_f32_e32 v6, 0xbf4178ce, v17
	v_fmac_f32_e32 v10, 0xbe903f40, v14
	v_mov_b32_e32 v5, v6
	v_add_f32_e32 v4, v10, v4
	;; [unrolled: 4-line block ×3, first 2 shown]
	v_fmac_f32_e32 v11, 0xbf75a155, v20
	v_add_f32_e32 v5, v11, v5
	v_mul_f32_e32 v11, 0xbe11bafb, v16
	v_mov_b32_e32 v12, v11
	v_fmac_f32_e32 v12, 0xbf7d64f0, v38
	v_add_f32_e32 v4, v12, v4
	v_mul_f32_e32 v12, 0x3f7d64f0, v33
	v_mov_b32_e32 v13, v12
	v_fmac_f32_e32 v13, 0xbe11bafb, v32
	v_add_f32_e32 v5, v13, v5
	v_mul_f32_e32 v13, 0x3f575c64, v39
	v_fmac_f32_e32 v7, 0xbf4178ce, v18
	v_mov_b32_e32 v23, v13
	v_add_f32_e32 v7, v7, v49
	v_fma_f32 v6, v31, s7, -v6
	v_fmac_f32_e32 v9, 0x3e903f40, v14
	v_fmac_f32_e32 v23, 0xbf0a6770, v42
	v_add_f32_e32 v6, v6, v22
	v_add_f32_e32 v7, v9, v7
	v_fma_f32 v9, v20, s8, -v10
	v_fmac_f32_e32 v11, 0x3f7d64f0, v38
	v_add_f32_e32 v4, v23, v4
	v_mul_f32_e32 v23, 0x3f0a6770, v41
	v_add_f32_e32 v6, v9, v6
	v_add_f32_e32 v7, v11, v7
	v_fma_f32 v9, v32, s0, -v12
	v_fmac_f32_e32 v13, 0x3f0a6770, v42
	v_add_f32_e32 v9, v9, v6
	v_add_f32_e32 v6, v13, v7
	v_fma_f32 v7, v40, s6, -v23
	v_mul_f32_e32 v10, 0xbf75a155, v30
	v_add_f32_e32 v7, v7, v9
	v_mov_b32_e32 v9, v10
	v_mul_f32_e32 v12, 0x3ed4b147, v19
	v_fmac_f32_e32 v9, 0xbe903f40, v18
	v_mov_b32_e32 v13, v12
	v_add_f32_e32 v8, v9, v8
	v_mul_f32_e32 v11, 0x3e903f40, v17
	v_fmac_f32_e32 v13, 0xbf68dda4, v14
	v_mov_b32_e32 v9, v11
	v_add_f32_e32 v8, v13, v8
	;; [unrolled: 4-line block ×3, first 2 shown]
	v_fmac_f32_e32 v22, 0x3ed4b147, v20
	v_add_f32_e32 v9, v22, v9
	v_mul_f32_e32 v22, 0x3f575c64, v16
	v_mov_b32_e32 v43, v23
	v_mov_b32_e32 v23, v22
	v_fmac_f32_e32 v23, 0x3f0a6770, v38
	v_fmac_f32_e32 v43, 0x3f575c64, v40
	v_add_f32_e32 v8, v23, v8
	v_mul_f32_e32 v23, 0xbf0a6770, v33
	v_add_f32_e32 v5, v43, v5
	v_mov_b32_e32 v43, v23
	v_fmac_f32_e32 v43, 0x3f575c64, v32
	v_add_f32_e32 v9, v43, v9
	v_mul_f32_e32 v43, 0xbf27a4f4, v39
	v_fmac_f32_e32 v10, 0x3e903f40, v18
	v_mov_b32_e32 v45, v43
	v_add_f32_e32 v10, v10, v50
	v_fma_f32 v11, v31, s8, -v11
	v_fmac_f32_e32 v12, 0x3f68dda4, v14
	v_fmac_f32_e32 v45, 0x3f4178ce, v42
	v_add_f32_e32 v11, v11, v44
	v_add_f32_e32 v10, v12, v10
	v_fma_f32 v12, v20, s1, -v13
	v_add_f32_e32 v8, v45, v8
	v_mul_f32_e32 v45, 0xbf4178ce, v41
	v_add_f32_e32 v11, v12, v11
	v_fmac_f32_e32 v22, 0xbf0a6770, v38
	v_fma_f32 v12, v32, s6, -v23
	v_add_f32_e32 v10, v22, v10
	v_add_f32_e32 v11, v12, v11
	v_fmac_f32_e32 v43, 0xbf4178ce, v42
	v_fma_f32 v12, v40, s7, -v45
	v_mul_f32_e32 v22, 0xbe11bafb, v30
	v_add_f32_e32 v10, v43, v10
	v_add_f32_e32 v11, v12, v11
	v_mov_b32_e32 v12, v22
	v_mul_f32_e32 v43, 0x3f575c64, v19
	v_fmac_f32_e32 v12, 0xbf7d64f0, v18
	v_mov_b32_e32 v44, v43
	v_add_f32_e32 v12, v12, v51
	v_mul_f32_e32 v23, 0x3f7d64f0, v17
	v_fmac_f32_e32 v44, 0x3f0a6770, v14
	v_mov_b32_e32 v13, v23
	v_add_f32_e32 v12, v44, v12
	v_mul_f32_e32 v44, 0xbf0a6770, v15
	v_mov_b32_e32 v49, v45
	v_fmac_f32_e32 v13, 0xbe11bafb, v31
	v_mov_b32_e32 v45, v44
	v_add_f32_e32 v13, v13, v47
	v_fmac_f32_e32 v45, 0x3f575c64, v20
	v_add_f32_e32 v13, v45, v13
	v_mul_f32_e32 v45, 0xbf75a155, v16
	v_mov_b32_e32 v47, v45
	v_fmac_f32_e32 v47, 0x3e903f40, v38
	v_fmac_f32_e32 v49, 0xbf27a4f4, v40
	v_add_f32_e32 v12, v47, v12
	v_mul_f32_e32 v47, 0xbe903f40, v33
	v_add_f32_e32 v9, v49, v9
	v_mov_b32_e32 v49, v47
	v_fmac_f32_e32 v49, 0xbf75a155, v32
	v_add_f32_e32 v13, v49, v13
	v_mul_f32_e32 v49, 0x3ed4b147, v39
	v_mov_b32_e32 v50, v49
	v_fmac_f32_e32 v50, 0xbf68dda4, v42
	v_add_f32_e32 v12, v50, v12
	v_mul_f32_e32 v50, 0x3f68dda4, v41
	v_mov_b32_e32 v51, v50
	v_fmac_f32_e32 v51, 0x3ed4b147, v40
	v_fmac_f32_e32 v22, 0x3f7d64f0, v18
	v_mul_f32_e32 v17, 0x3f0a6770, v17
	v_add_f32_e32 v13, v51, v13
	v_add_f32_e32 v22, v22, v52
	v_fma_f32 v23, v31, s0, -v23
	v_mul_f32_e32 v30, 0x3f575c64, v30
	v_mov_b32_e32 v51, v17
	v_fma_f32 v17, v31, s6, -v17
	v_fmac_f32_e32 v43, 0xbf0a6770, v14
	v_add_f32_e32 v23, v23, v46
	v_mov_b32_e32 v46, v30
	v_fmac_f32_e32 v30, 0x3f0a6770, v18
	v_add_f32_e32 v17, v17, v21
	v_add_f32_e32 v21, v43, v22
	v_fma_f32 v22, v20, s6, -v44
	v_mul_f32_e32 v19, 0xbf27a4f4, v19
	v_mul_f32_e32 v15, 0xbf4178ce, v15
	v_fmac_f32_e32 v46, 0xbf0a6770, v18
	v_add_f32_e32 v18, v30, v54
	v_add_f32_e32 v22, v22, v23
	v_mov_b32_e32 v23, v19
	v_mov_b32_e32 v30, v15
	v_fmac_f32_e32 v19, 0xbf4178ce, v14
	v_mul_f32_e32 v16, 0x3ed4b147, v16
	v_fmac_f32_e32 v23, 0x3f4178ce, v14
	v_fmac_f32_e32 v30, 0xbf27a4f4, v20
	v_add_f32_e32 v14, v19, v18
	v_fma_f32 v15, v20, s7, -v15
	v_fma_f32 v18, v32, s8, -v47
	v_mov_b32_e32 v19, v16
	v_mul_f32_e32 v20, 0x3f68dda4, v33
	v_fmac_f32_e32 v16, 0x3f68dda4, v38
	v_add_f32_e32 v15, v15, v17
	v_fmac_f32_e32 v45, 0xbe903f40, v38
	v_add_f32_e32 v18, v18, v22
	v_add_f32_e32 v22, v16, v14
	v_fma_f32 v14, v32, s1, -v20
	v_add_f32_e32 v17, v45, v21
	v_mov_b32_e32 v21, v20
	v_add_f32_e32 v20, v14, v15
	v_fma_f32 v15, v40, s1, -v50
	v_add_f32_e32 v46, v46, v53
	v_add_f32_e32 v15, v15, v18
	v_mul_f32_e32 v18, 0xbe11bafb, v39
	v_add_f32_e32 v23, v23, v46
	v_fmac_f32_e32 v19, 0xbf68dda4, v38
	v_mov_b32_e32 v16, v18
	v_fmac_f32_e32 v51, 0x3f575c64, v31
	v_add_f32_e32 v19, v19, v23
	v_fmac_f32_e32 v16, 0x3f7d64f0, v42
	v_add_f32_e32 v48, v51, v48
	;; [unrolled: 2-line block ×3, first 2 shown]
	v_mul_f32_e32 v19, 0xbf7d64f0, v41
	v_add_f32_e32 v30, v30, v48
	v_fmac_f32_e32 v21, 0x3ed4b147, v32
	v_add_f32_e32 v14, v49, v17
	v_mov_b32_e32 v17, v19
	v_fma_f32 v19, v40, s0, -v19
	s_movk_i32 s0, 0x58
	v_add_f32_e32 v21, v21, v30
	v_fmac_f32_e32 v17, 0xbe11bafb, v40
	v_fmac_f32_e32 v18, 0xbf7d64f0, v42
	v_mad_u32_u24 v38, v35, s0, 0
	s_movk_i32 s0, 0xffb0
	s_load_dwordx2 s[4:5], s[4:5], 0x0
	v_add_f32_e32 v17, v17, v21
	v_add_f32_e32 v18, v18, v22
	;; [unrolled: 1-line block ×3, first 2 shown]
	ds_write2_b64 v38, v[0:1], v[2:3] offset1:1
	ds_write2_b64 v38, v[4:5], v[8:9] offset0:2 offset1:3
	ds_write2_b64 v38, v[12:13], v[16:17] offset0:4 offset1:5
	;; [unrolled: 1-line block ×4, first 2 shown]
	ds_write_b64 v38, v[28:29] offset:80
	v_mad_i32_i24 v0, v35, s0, v38
	v_add_u32_e32 v1, 0x800, v0
	v_lshl_add_u32 v40, v37, 3, 0
	s_waitcnt lgkmcnt(0)
	; wave barrier
	s_waitcnt lgkmcnt(0)
	ds_read2_b64 v[8:11], v0 offset1:121
	ds_read2_b64 v[20:23], v0 offset0:176 offset1:242
	ds_read2_b64 v[16:19], v1 offset0:41 offset1:107
	;; [unrolled: 1-line block ×3, first 2 shown]
	ds_read_b64 v[30:31], v40
	ds_read_b64 v[32:33], v0 offset:4312
	v_mul_i32_i24_e32 v0, 0xffffffb0, v35
	v_cmp_gt_u32_e64 s[0:1], 11, v35
	v_add_u32_e32 v38, v38, v0
	v_lshl_add_u32 v39, v36, 3, 0
                                        ; implicit-def: $vgpr7
                                        ; implicit-def: $vgpr3
	s_and_saveexec_b64 s[6:7], s[0:1]
	s_cbranch_execz .LBB0_15
; %bb.14:
	v_add_u32_e32 v0, 0x400, v38
	v_add_u32_e32 v4, 0xc00, v38
	ds_read_b64 v[28:29], v39
	ds_read2_b64 v[0:3], v0 offset0:103 offset1:224
	ds_read2_b64 v[4:7], v4 offset0:89 offset1:210
.LBB0_15:
	s_or_b64 exec, exec, s[6:7]
	s_movk_i32 s8, 0x75
	v_mul_lo_u16_sdwa v41, v35, s8 dst_sel:DWORD dst_unused:UNUSED_PAD src0_sel:BYTE_0 src1_sel:DWORD
	v_sub_u16_sdwa v42, v35, v41 dst_sel:DWORD dst_unused:UNUSED_PAD src0_sel:DWORD src1_sel:BYTE_1
	v_lshrrev_b16_e32 v42, 1, v42
	v_and_b32_e32 v42, 0x7f, v42
	v_add_u16_sdwa v41, v42, v41 dst_sel:DWORD dst_unused:UNUSED_PAD src0_sel:DWORD src1_sel:BYTE_1
	v_lshrrev_b16_e32 v49, 3, v41
	v_mul_lo_u16_e32 v41, 11, v49
	v_sub_u16_e32 v50, v35, v41
	v_mov_b32_e32 v51, 5
	v_lshlrev_b32_sdwa v52, v51, v50 dst_sel:DWORD dst_unused:UNUSED_PAD src0_sel:DWORD src1_sel:BYTE_0
	global_load_dwordx4 v[41:44], v52, s[12:13] offset:16
	global_load_dwordx4 v[45:48], v52, s[12:13]
	s_waitcnt vmcnt(1) lgkmcnt(2)
	v_mul_f32_e32 v55, v44, v14
	s_waitcnt vmcnt(0)
	v_mul_f32_e32 v52, v46, v11
	v_fma_f32 v52, v45, v10, -v52
	v_mul_f32_e32 v53, v46, v10
	v_mul_f32_e32 v10, v48, v23
	v_fma_f32 v54, v47, v22, -v10
	v_mul_f32_e32 v22, v48, v22
	v_mul_f32_e32 v10, v42, v19
	v_fmac_f32_e32 v22, v47, v23
	v_fma_f32 v23, v41, v18, -v10
	v_mul_f32_e32 v18, v42, v18
	v_mul_f32_e32 v10, v44, v15
	v_fmac_f32_e32 v18, v41, v19
	v_fma_f32 v19, v43, v14, -v10
	v_mul_lo_u16_sdwa v10, v37, s8 dst_sel:DWORD dst_unused:UNUSED_PAD src0_sel:BYTE_0 src1_sel:DWORD
	v_fmac_f32_e32 v53, v45, v11
	v_sub_u16_sdwa v11, v37, v10 dst_sel:DWORD dst_unused:UNUSED_PAD src0_sel:DWORD src1_sel:BYTE_1
	v_lshrrev_b16_e32 v11, 1, v11
	v_and_b32_e32 v11, 0x7f, v11
	v_add_u16_sdwa v10, v11, v10 dst_sel:DWORD dst_unused:UNUSED_PAD src0_sel:DWORD src1_sel:BYTE_1
	v_lshrrev_b16_e32 v56, 3, v10
	v_mul_lo_u16_e32 v10, 11, v56
	v_sub_u16_e32 v37, v37, v10
	v_lshlrev_b32_sdwa v10, v51, v37 dst_sel:DWORD dst_unused:UNUSED_PAD src0_sel:DWORD src1_sel:BYTE_0
	v_fmac_f32_e32 v55, v43, v15
	global_load_dwordx4 v[41:44], v10, s[12:13] offset:16
	global_load_dwordx4 v[45:48], v10, s[12:13]
	v_add_f32_e32 v11, v54, v23
	v_sub_f32_e32 v15, v52, v54
	s_waitcnt lgkmcnt(0)
	; wave barrier
	s_waitcnt vmcnt(0) lgkmcnt(0)
	v_mul_f32_e32 v10, v46, v21
	v_fma_f32 v51, v45, v20, -v10
	v_mul_f32_e32 v46, v46, v20
	v_mul_f32_e32 v10, v48, v17
	v_fmac_f32_e32 v46, v45, v21
	v_fma_f32 v45, v47, v16, -v10
	v_mul_f32_e32 v48, v48, v16
	v_mul_f32_e32 v10, v42, v13
	v_fmac_f32_e32 v48, v47, v17
	v_fma_f32 v47, v41, v12, -v10
	v_mul_f32_e32 v42, v42, v12
	v_fma_f32 v12, -0.5, v11, v8
	v_sub_f32_e32 v11, v53, v55
	v_mov_b32_e32 v14, v12
	v_fmac_f32_e32 v42, v41, v13
	v_fmac_f32_e32 v14, 0x3f737871, v11
	v_sub_f32_e32 v13, v22, v18
	v_sub_f32_e32 v16, v19, v23
	v_fmac_f32_e32 v12, 0xbf737871, v11
	v_fmac_f32_e32 v14, 0x3f167918, v13
	v_add_f32_e32 v15, v15, v16
	v_fmac_f32_e32 v12, 0xbf167918, v13
	v_mul_f32_e32 v10, v33, v44
	v_fmac_f32_e32 v14, 0x3e9e377a, v15
	v_fmac_f32_e32 v12, 0x3e9e377a, v15
	v_add_f32_e32 v15, v52, v19
	v_fma_f32 v41, v32, v43, -v10
	v_add_f32_e32 v10, v8, v52
	v_fma_f32 v8, -0.5, v15, v8
	v_mov_b32_e32 v16, v8
	v_add_f32_e32 v10, v10, v54
	v_fmac_f32_e32 v16, 0xbf737871, v13
	v_sub_f32_e32 v15, v54, v52
	v_sub_f32_e32 v17, v23, v19
	v_fmac_f32_e32 v8, 0x3f737871, v13
	v_add_f32_e32 v13, v22, v18
	v_add_f32_e32 v10, v10, v23
	v_fmac_f32_e32 v16, 0x3f167918, v11
	v_add_f32_e32 v15, v15, v17
	v_fmac_f32_e32 v8, 0xbf167918, v11
	v_fma_f32 v13, -0.5, v13, v9
	v_add_f32_e32 v10, v10, v19
	v_fmac_f32_e32 v16, 0x3e9e377a, v15
	v_fmac_f32_e32 v8, 0x3e9e377a, v15
	v_sub_f32_e32 v19, v52, v19
	v_mov_b32_e32 v15, v13
	v_fmac_f32_e32 v15, 0xbf737871, v19
	v_sub_f32_e32 v20, v54, v23
	v_sub_f32_e32 v17, v53, v22
	;; [unrolled: 1-line block ×3, first 2 shown]
	v_fmac_f32_e32 v13, 0x3f737871, v19
	v_fmac_f32_e32 v15, 0xbf167918, v20
	v_add_f32_e32 v17, v17, v21
	v_fmac_f32_e32 v13, 0x3f167918, v20
	v_fmac_f32_e32 v15, 0x3e9e377a, v17
	;; [unrolled: 1-line block ×3, first 2 shown]
	v_add_f32_e32 v17, v53, v55
	v_add_f32_e32 v11, v9, v53
	v_fma_f32 v9, -0.5, v17, v9
	v_mov_b32_e32 v17, v9
	v_fmac_f32_e32 v17, 0x3f737871, v20
	v_fmac_f32_e32 v9, 0xbf737871, v20
	v_mul_f32_e32 v44, v32, v44
	v_fmac_f32_e32 v17, 0xbf167918, v19
	v_fmac_f32_e32 v9, 0x3f167918, v19
	v_add_f32_e32 v19, v45, v47
	v_fmac_f32_e32 v44, v33, v43
	v_add_f32_e32 v11, v11, v22
	v_fma_f32 v20, -0.5, v19, v30
	v_add_f32_e32 v11, v11, v18
	v_sub_f32_e32 v21, v22, v53
	v_sub_f32_e32 v18, v18, v55
	;; [unrolled: 1-line block ×3, first 2 shown]
	v_mov_b32_e32 v22, v20
	v_add_f32_e32 v18, v21, v18
	v_fmac_f32_e32 v22, 0x3f737871, v19
	v_sub_f32_e32 v21, v48, v42
	v_sub_f32_e32 v23, v51, v45
	;; [unrolled: 1-line block ×3, first 2 shown]
	v_fmac_f32_e32 v20, 0xbf737871, v19
	v_fmac_f32_e32 v22, 0x3f167918, v21
	v_add_f32_e32 v23, v23, v32
	v_fmac_f32_e32 v20, 0xbf167918, v21
	v_fmac_f32_e32 v22, 0x3e9e377a, v23
	;; [unrolled: 1-line block ×3, first 2 shown]
	v_add_f32_e32 v23, v51, v41
	v_fmac_f32_e32 v17, 0x3e9e377a, v18
	v_fmac_f32_e32 v9, 0x3e9e377a, v18
	v_add_f32_e32 v18, v30, v51
	v_fma_f32 v30, -0.5, v23, v30
	v_mov_b32_e32 v32, v30
	v_add_f32_e32 v18, v18, v45
	v_fmac_f32_e32 v32, 0xbf737871, v21
	v_sub_f32_e32 v23, v45, v51
	v_sub_f32_e32 v33, v47, v41
	v_fmac_f32_e32 v30, 0x3f737871, v21
	v_add_f32_e32 v21, v48, v42
	v_add_f32_e32 v18, v18, v47
	v_fmac_f32_e32 v32, 0x3f167918, v19
	v_add_f32_e32 v23, v23, v33
	v_fmac_f32_e32 v30, 0xbf167918, v19
	v_fma_f32 v21, -0.5, v21, v31
	v_add_f32_e32 v18, v18, v41
	v_fmac_f32_e32 v32, 0x3e9e377a, v23
	v_fmac_f32_e32 v30, 0x3e9e377a, v23
	v_sub_f32_e32 v41, v51, v41
	v_mov_b32_e32 v23, v21
	v_fmac_f32_e32 v23, 0xbf737871, v41
	v_sub_f32_e32 v43, v45, v47
	v_sub_f32_e32 v33, v46, v48
	;; [unrolled: 1-line block ×3, first 2 shown]
	v_fmac_f32_e32 v21, 0x3f737871, v41
	v_fmac_f32_e32 v23, 0xbf167918, v43
	v_add_f32_e32 v33, v33, v45
	v_fmac_f32_e32 v21, 0x3f167918, v43
	v_fmac_f32_e32 v23, 0x3e9e377a, v33
	;; [unrolled: 1-line block ×3, first 2 shown]
	v_add_f32_e32 v33, v46, v44
	v_add_f32_e32 v19, v31, v46
	v_fmac_f32_e32 v31, -0.5, v33
	v_add_f32_e32 v19, v19, v48
	v_mov_b32_e32 v33, v31
	v_add_f32_e32 v19, v19, v42
	v_fmac_f32_e32 v33, 0x3f737871, v43
	v_sub_f32_e32 v45, v48, v46
	v_sub_f32_e32 v42, v42, v44
	v_fmac_f32_e32 v31, 0xbf737871, v43
	v_fmac_f32_e32 v33, 0xbf167918, v41
	v_add_f32_e32 v42, v45, v42
	v_fmac_f32_e32 v31, 0x3f167918, v41
	v_fmac_f32_e32 v33, 0x3e9e377a, v42
	;; [unrolled: 1-line block ×3, first 2 shown]
	v_mov_b32_e32 v42, 3
	v_mul_u32_u24_e32 v41, 0x1b8, v49
	v_lshlrev_b32_sdwa v43, v42, v50 dst_sel:DWORD dst_unused:UNUSED_PAD src0_sel:DWORD src1_sel:BYTE_0
	v_add_f32_e32 v11, v11, v55
	v_add3_u32 v41, 0, v41, v43
	ds_write2_b64 v41, v[10:11], v[14:15] offset1:11
	ds_write2_b64 v41, v[16:17], v[8:9] offset0:22 offset1:33
	ds_write_b64 v41, v[12:13] offset:352
	v_mul_u32_u24_e32 v8, 0x1b8, v56
	v_lshlrev_b32_sdwa v9, v42, v37 dst_sel:DWORD dst_unused:UNUSED_PAD src0_sel:DWORD src1_sel:BYTE_0
	v_add_f32_e32 v19, v19, v44
	v_add3_u32 v8, 0, v8, v9
	ds_write2_b64 v8, v[18:19], v[22:23] offset1:11
	ds_write2_b64 v8, v[32:33], v[30:31] offset0:22 offset1:33
	ds_write_b64 v8, v[20:21] offset:352
	s_and_saveexec_b64 s[6:7], s[0:1]
	s_cbranch_execz .LBB0_17
; %bb.16:
	v_mul_lo_u16_sdwa v8, v36, s8 dst_sel:DWORD dst_unused:UNUSED_PAD src0_sel:BYTE_0 src1_sel:DWORD
	v_sub_u16_sdwa v9, v36, v8 dst_sel:DWORD dst_unused:UNUSED_PAD src0_sel:DWORD src1_sel:BYTE_1
	v_lshrrev_b16_e32 v9, 1, v9
	v_and_b32_e32 v9, 0x7f, v9
	v_add_u16_sdwa v8, v9, v8 dst_sel:DWORD dst_unused:UNUSED_PAD src0_sel:DWORD src1_sel:BYTE_1
	v_lshrrev_b16_e32 v8, 3, v8
	v_mul_lo_u16_e32 v8, 11, v8
	v_sub_u16_e32 v8, v36, v8
	v_and_b32_e32 v16, 0xff, v8
	v_lshlrev_b32_e32 v17, 5, v16
	global_load_dwordx4 v[8:11], v17, s[12:13]
	global_load_dwordx4 v[12:15], v17, s[12:13] offset:16
	v_lshl_add_u32 v16, v16, 3, 0
	v_add_u32_e32 v17, 0x1000, v16
	s_waitcnt vmcnt(1)
	v_mul_f32_e32 v18, v2, v11
	v_mul_f32_e32 v19, v0, v9
	s_waitcnt vmcnt(0)
	v_mul_f32_e32 v20, v4, v13
	v_mul_f32_e32 v21, v6, v15
	v_mul_f32_e32 v9, v1, v9
	v_mul_f32_e32 v15, v7, v15
	v_mul_f32_e32 v11, v3, v11
	v_mul_f32_e32 v13, v5, v13
	v_fmac_f32_e32 v18, v3, v10
	v_fmac_f32_e32 v19, v1, v8
	;; [unrolled: 1-line block ×4, first 2 shown]
	v_fma_f32 v0, v0, v8, -v9
	v_fma_f32 v8, v6, v14, -v15
	v_fma_f32 v5, v2, v10, -v11
	v_fma_f32 v9, v4, v12, -v13
	v_sub_f32_e32 v1, v18, v19
	v_sub_f32_e32 v2, v20, v21
	v_add_f32_e32 v3, v19, v21
	v_sub_f32_e32 v4, v19, v18
	v_sub_f32_e32 v6, v21, v20
	v_add_f32_e32 v7, v18, v20
	v_add_f32_e32 v12, v29, v19
	;; [unrolled: 1-line block ×4, first 2 shown]
	v_sub_f32_e32 v10, v0, v8
	v_sub_f32_e32 v13, v5, v0
	;; [unrolled: 1-line block ×5, first 2 shown]
	v_add_f32_e32 v32, v28, v0
	v_add_f32_e32 v33, v1, v2
	v_fma_f32 v1, -0.5, v3, v29
	v_add_f32_e32 v36, v4, v6
	v_fma_f32 v3, -0.5, v7, v29
	;; [unrolled: 2-line block ×3, first 2 shown]
	v_fma_f32 v2, -0.5, v31, v28
	v_sub_f32_e32 v11, v5, v9
	v_sub_f32_e32 v22, v18, v20
	;; [unrolled: 1-line block ×3, first 2 shown]
	v_add_f32_e32 v12, v13, v14
	v_add_f32_e32 v14, v32, v5
	v_mov_b32_e32 v5, v1
	v_mov_b32_e32 v7, v3
	v_fmac_f32_e32 v3, 0xbf737871, v10
	v_add_f32_e32 v15, v4, v20
	v_mov_b32_e32 v4, v0
	v_mov_b32_e32 v6, v2
	v_fmac_f32_e32 v2, 0x3f737871, v19
	v_add_f32_e32 v13, v23, v30
	v_fmac_f32_e32 v1, 0x3f737871, v11
	v_fmac_f32_e32 v0, 0xbf737871, v22
	v_add_f32_e32 v14, v14, v9
	v_fmac_f32_e32 v5, 0xbf737871, v11
	v_fmac_f32_e32 v7, 0x3f737871, v10
	;; [unrolled: 1-line block ×7, first 2 shown]
	v_add_f32_e32 v9, v15, v21
	v_fmac_f32_e32 v0, 0x3f167918, v19
	v_add_f32_e32 v8, v14, v8
	v_fmac_f32_e32 v5, 0x3f167918, v10
	v_fmac_f32_e32 v7, 0x3f167918, v11
	;; [unrolled: 1-line block ×12, first 2 shown]
	ds_write2_b64 v17, v[8:9], v[2:3] offset0:38 offset1:49
	ds_write2_b64 v17, v[0:1], v[4:5] offset0:60 offset1:71
	ds_write_b64 v16, v[6:7] offset:4752
.LBB0_17:
	s_or_b64 exec, exec, s[6:7]
	s_waitcnt lgkmcnt(0)
	; wave barrier
	s_waitcnt lgkmcnt(0)
	s_and_saveexec_b64 s[0:1], vcc
	s_cbranch_execz .LBB0_19
; %bb.18:
	v_mul_u32_u24_e32 v0, 10, v35
	v_lshlrev_b32_e32 v0, 3, v0
	global_load_dwordx4 v[2:5], v0, s[12:13] offset:352
	global_load_dwordx4 v[6:9], v0, s[12:13] offset:416
	;; [unrolled: 1-line block ×5, first 2 shown]
	ds_read_b64 v[22:23], v40
	v_mul_lo_u32 v47, s5, v26
	v_mul_lo_u32 v48, s4, v27
	v_mad_u64_u32 v[0:1], s[0:1], s4, v26, 0
	ds_read2_b64 v[26:29], v38 offset1:165
	ds_read_b64 v[43:44], v38 offset:4400
	ds_read_b64 v[45:46], v39
	v_add_u32_e32 v39, 0x800, v38
	v_add_u32_e32 v35, 0x400, v38
	ds_read2_b64 v[30:33], v39 offset0:184 offset1:239
	ds_read2_b64 v[35:38], v35 offset0:92 offset1:147
	ds_read2_b64 v[39:42], v39 offset0:74 offset1:129
	v_add3_u32 v1, v1, v48, v47
	s_mov_b32 s0, 0xbf75a155
	s_mov_b32 s1, 0x3f575c64
	;; [unrolled: 1-line block ×5, first 2 shown]
	v_lshlrev_b64 v[0:1], 3, v[0:1]
	s_waitcnt vmcnt(4) lgkmcnt(6)
	v_mul_f32_e32 v47, v3, v23
	s_waitcnt vmcnt(3) lgkmcnt(4)
	v_mul_f32_e32 v48, v9, v44
	v_mul_f32_e32 v44, v8, v44
	s_waitcnt lgkmcnt(2)
	v_mul_f32_e32 v50, v7, v33
	v_mul_f32_e32 v33, v6, v33
	;; [unrolled: 1-line block ×5, first 2 shown]
	s_waitcnt vmcnt(2)
	v_mul_f32_e32 v51, v11, v29
	v_fma_f32 v48, v8, v43, -v48
	v_fmac_f32_e32 v44, v43, v9
	v_fma_f32 v43, v6, v32, -v50
	v_fmac_f32_e32 v33, v32, v7
	v_fma_f32 v32, v2, v22, -v47
	s_waitcnt vmcnt(1)
	v_mul_f32_e32 v52, v17, v31
	v_mul_f32_e32 v29, v10, v29
	s_waitcnt lgkmcnt(0)
	v_mul_f32_e32 v54, v15, v42
	v_mul_f32_e32 v42, v14, v42
	s_waitcnt vmcnt(0)
	v_mul_f32_e32 v56, v21, v40
	v_fmac_f32_e32 v23, v3, v22
	v_fma_f32 v22, v4, v45, -v49
	v_fmac_f32_e32 v46, v5, v45
	v_fma_f32 v45, v10, v28, -v51
	v_sub_f32_e32 v10, v32, v48
	v_mul_f32_e32 v31, v16, v31
	v_mul_f32_e32 v53, v13, v36
	;; [unrolled: 1-line block ×3, first 2 shown]
	v_fma_f32 v16, v16, v30, -v52
	v_fmac_f32_e32 v29, v11, v28
	v_fmac_f32_e32 v42, v41, v15
	v_fma_f32 v15, v20, v39, -v56
	v_sub_f32_e32 v11, v22, v43
	v_mul_f32_e32 v20, 0xbe903f40, v10
	v_mul_f32_e32 v36, v12, v36
	v_mul_f32_e32 v55, v19, v38
	v_fmac_f32_e32 v31, v30, v17
	v_fma_f32 v12, v12, v35, -v53
	v_fma_f32 v14, v14, v41, -v54
	v_fmac_f32_e32 v40, v39, v21
	v_add_f32_e32 v28, v23, v44
	v_sub_f32_e32 v17, v45, v16
	v_mul_f32_e32 v21, 0x3f0a6770, v11
	v_mov_b32_e32 v2, v20
	v_mul_f32_e32 v38, v18, v38
	v_fmac_f32_e32 v36, v13, v35
	v_fma_f32 v13, v18, v37, -v55
	v_add_f32_e32 v30, v46, v33
	v_sub_f32_e32 v18, v12, v14
	v_mul_f32_e32 v41, 0xbf4178ce, v17
	v_mov_b32_e32 v3, v21
	v_fmac_f32_e32 v2, 0xbf75a155, v28
	v_fmac_f32_e32 v38, v19, v37
	v_add_f32_e32 v35, v29, v31
	v_sub_f32_e32 v19, v13, v15
	v_mul_f32_e32 v47, 0x3f68dda4, v18
	v_mov_b32_e32 v4, v41
	v_fmac_f32_e32 v3, 0x3f575c64, v30
	v_add_f32_e32 v2, v2, v27
	v_add_f32_e32 v37, v36, v42
	v_mul_f32_e32 v49, 0xbf7d64f0, v19
	v_mov_b32_e32 v5, v47
	v_fmac_f32_e32 v4, 0xbf27a4f4, v35
	v_add_f32_e32 v2, v2, v3
	v_add_f32_e32 v39, v38, v40
	v_fmac_f32_e32 v5, 0x3ed4b147, v37
	v_add_f32_e32 v2, v2, v4
	v_mov_b32_e32 v3, v49
	v_sub_f32_e32 v51, v23, v44
	v_add_f32_e32 v2, v2, v5
	v_fmac_f32_e32 v3, 0xbe11bafb, v39
	v_add_f32_e32 v50, v32, v48
	v_mul_f32_e32 v52, 0xbe903f40, v51
	v_sub_f32_e32 v54, v46, v33
	v_add_f32_e32 v3, v2, v3
	v_fma_f32 v2, v50, s0, -v52
	v_add_f32_e32 v53, v22, v43
	v_mul_f32_e32 v55, 0x3f0a6770, v54
	v_sub_f32_e32 v57, v29, v31
	v_add_f32_e32 v2, v2, v26
	v_fma_f32 v4, v53, s1, -v55
	;; [unrolled: 5-line block ×4, first 2 shown]
	v_add_f32_e32 v62, v13, v15
	v_mul_f32_e32 v64, 0xbf7d64f0, v63
	v_add_f32_e32 v2, v2, v4
	v_fma_f32 v4, v62, s6, -v64
	v_mul_f32_e32 v65, 0xbf4178ce, v10
	v_add_f32_e32 v2, v2, v4
	v_mov_b32_e32 v4, v65
	v_mul_f32_e32 v66, 0x3f7d64f0, v11
	v_fmac_f32_e32 v4, 0xbf27a4f4, v28
	v_mov_b32_e32 v5, v66
	v_add_f32_e32 v4, v4, v27
	v_fmac_f32_e32 v5, 0xbe11bafb, v30
	v_mul_f32_e32 v67, 0xbf0a6770, v17
	v_add_f32_e32 v4, v4, v5
	v_mov_b32_e32 v5, v67
	v_fmac_f32_e32 v5, 0x3f575c64, v35
	v_mul_f32_e32 v68, 0xbe903f40, v18
	v_add_f32_e32 v4, v4, v5
	v_mov_b32_e32 v5, v68
	v_fmac_f32_e32 v5, 0xbf75a155, v37
	v_mul_f32_e32 v69, 0xbf4178ce, v51
	v_add_f32_e32 v4, v4, v5
	v_fma_f32 v5, v50, s4, -v69
	v_mul_f32_e32 v70, 0x3f7d64f0, v54
	v_add_f32_e32 v5, v5, v26
	v_fma_f32 v6, v53, s6, -v70
	;; [unrolled: 3-line block ×4, first 2 shown]
	v_mul_f32_e32 v73, 0x3f68dda4, v19
	v_add_f32_e32 v6, v5, v6
	v_mov_b32_e32 v5, v73
	v_fmac_f32_e32 v5, 0x3ed4b147, v39
	v_mul_f32_e32 v74, 0x3f68dda4, v63
	v_add_f32_e32 v5, v4, v5
	v_fma_f32 v4, v62, s5, -v74
	v_mul_f32_e32 v75, 0xbf7d64f0, v10
	v_add_f32_e32 v4, v6, v4
	v_mov_b32_e32 v6, v75
	v_mul_f32_e32 v76, 0x3e903f40, v11
	v_fmac_f32_e32 v6, 0xbe11bafb, v28
	v_mov_b32_e32 v7, v76
	v_add_f32_e32 v6, v6, v27
	v_fmac_f32_e32 v7, 0xbf75a155, v30
	v_mul_f32_e32 v77, 0x3f68dda4, v17
	v_add_f32_e32 v6, v6, v7
	v_mov_b32_e32 v7, v77
	v_fmac_f32_e32 v7, 0x3ed4b147, v35
	v_mul_f32_e32 v78, 0xbf0a6770, v18
	v_add_f32_e32 v6, v6, v7
	v_mov_b32_e32 v7, v78
	v_fmac_f32_e32 v7, 0x3f575c64, v37
	v_mul_f32_e32 v79, 0xbf7d64f0, v51
	v_add_f32_e32 v6, v6, v7
	v_fma_f32 v7, v50, s6, -v79
	v_mul_f32_e32 v80, 0x3e903f40, v54
	v_add_f32_e32 v7, v7, v26
	v_fma_f32 v8, v53, s0, -v80
	;; [unrolled: 3-line block ×4, first 2 shown]
	v_mul_f32_e32 v83, 0xbf4178ce, v19
	v_add_f32_e32 v8, v7, v8
	v_mov_b32_e32 v7, v83
	v_fmac_f32_e32 v7, 0xbf27a4f4, v39
	v_mul_f32_e32 v84, 0xbf4178ce, v63
	v_add_f32_e32 v7, v6, v7
	v_fma_f32 v6, v62, s4, -v84
	v_mul_f32_e32 v85, 0xbf68dda4, v10
	v_add_f32_e32 v6, v8, v6
	v_mov_b32_e32 v8, v85
	v_mul_f32_e32 v86, 0xbf4178ce, v11
	v_fmac_f32_e32 v8, 0x3ed4b147, v28
	v_mov_b32_e32 v9, v86
	v_add_f32_e32 v8, v8, v27
	v_fmac_f32_e32 v9, 0xbf27a4f4, v30
	v_mul_f32_e32 v87, 0x3e903f40, v17
	v_add_f32_e32 v8, v8, v9
	v_mov_b32_e32 v9, v87
	v_fmac_f32_e32 v9, 0xbf75a155, v35
	v_mul_f32_e32 v88, 0x3f7d64f0, v18
	v_add_f32_e32 v8, v8, v9
	v_mov_b32_e32 v9, v88
	v_fmac_f32_e32 v9, 0xbe11bafb, v37
	v_mul_f32_e32 v89, 0xbf68dda4, v51
	v_add_f32_e32 v8, v8, v9
	v_fma_f32 v9, v50, s5, -v89
	v_mul_f32_e32 v90, 0xbf4178ce, v54
	v_add_f32_e32 v9, v9, v26
	v_fma_f32 v91, v53, s4, -v90
	v_add_f32_e32 v9, v9, v91
	v_mul_f32_e32 v91, 0x3e903f40, v57
	v_fma_f32 v92, v56, s0, -v91
	v_add_f32_e32 v9, v9, v92
	v_mul_f32_e32 v92, 0x3f7d64f0, v60
	v_fma_f32 v93, v59, s6, -v92
	v_mul_f32_e32 v94, 0x3f0a6770, v19
	v_add_f32_e32 v93, v9, v93
	v_mov_b32_e32 v9, v94
	v_fmac_f32_e32 v9, 0x3f575c64, v39
	v_mul_f32_e32 v95, 0x3f0a6770, v63
	v_add_f32_e32 v9, v8, v9
	v_fma_f32 v8, v62, s1, -v95
	v_add_f32_e32 v8, v93, v8
	v_mul_f32_e32 v93, 0xbf0a6770, v10
	v_mov_b32_e32 v10, v93
	v_mul_f32_e32 v96, 0xbf68dda4, v11
	v_fmac_f32_e32 v10, 0x3f575c64, v28
	v_mov_b32_e32 v11, v96
	v_add_f32_e32 v10, v10, v27
	v_fmac_f32_e32 v11, 0x3ed4b147, v30
	v_mul_f32_e32 v97, 0xbf7d64f0, v17
	v_add_f32_e32 v10, v10, v11
	v_mov_b32_e32 v11, v97
	v_fmac_f32_e32 v11, 0xbe11bafb, v35
	v_mul_f32_e32 v98, 0xbf4178ce, v18
	v_add_f32_e32 v10, v10, v11
	v_mov_b32_e32 v11, v98
	v_fmac_f32_e32 v11, 0xbf27a4f4, v37
	v_mul_f32_e32 v51, 0xbf0a6770, v51
	v_add_f32_e32 v10, v10, v11
	v_fma_f32 v11, v50, s1, -v51
	v_mul_f32_e32 v54, 0xbf68dda4, v54
	v_add_f32_e32 v11, v11, v26
	v_fma_f32 v17, v53, s5, -v54
	v_mul_f32_e32 v57, 0xbf7d64f0, v57
	v_add_f32_e32 v18, v32, v26
	v_add_f32_e32 v11, v11, v17
	v_fma_f32 v17, v56, s6, -v57
	v_mul_f32_e32 v60, 0xbf4178ce, v60
	v_add_f32_e32 v18, v18, v22
	;; [unrolled: 4-line block ×3, first 2 shown]
	v_add_f32_e32 v17, v11, v17
	v_mov_b32_e32 v11, v99
	v_add_f32_e32 v12, v18, v12
	v_fmac_f32_e32 v11, 0xbf75a155, v39
	v_mul_f32_e32 v63, 0xbe903f40, v63
	v_add_f32_e32 v12, v12, v13
	v_add_f32_e32 v11, v10, v11
	v_fma_f32 v10, v62, s0, -v63
	v_add_f32_e32 v12, v12, v15
	v_add_f32_e32 v10, v17, v10
	;; [unrolled: 1-line block ×4, first 2 shown]
	v_fma_f32 v14, v28, s0, -v20
	v_add_f32_e32 v17, v17, v46
	v_add_f32_e32 v14, v14, v27
	v_fma_f32 v15, v30, s1, -v21
	v_add_f32_e32 v17, v17, v29
	v_add_f32_e32 v14, v14, v15
	;; [unrolled: 3-line block ×3, first 2 shown]
	v_fma_f32 v15, v37, s5, -v47
	v_fmac_f32_e32 v52, 0xbf75a155, v50
	v_add_f32_e32 v17, v17, v38
	v_add_f32_e32 v14, v14, v15
	;; [unrolled: 1-line block ×3, first 2 shown]
	v_fmac_f32_e32 v55, 0x3f575c64, v53
	v_add_f32_e32 v17, v17, v40
	v_add_f32_e32 v15, v15, v55
	v_fmac_f32_e32 v58, 0xbf27a4f4, v56
	v_add_f32_e32 v17, v42, v17
	v_add_f32_e32 v15, v15, v58
	;; [unrolled: 3-line block ×3, first 2 shown]
	v_add_f32_e32 v16, v15, v61
	v_fma_f32 v15, v39, s6, -v49
	v_fmac_f32_e32 v64, 0xbe11bafb, v62
	v_add_f32_e32 v17, v33, v17
	v_add_f32_e32 v15, v14, v15
	;; [unrolled: 1-line block ×3, first 2 shown]
	v_fma_f32 v16, v28, s4, -v65
	v_add_f32_e32 v13, v44, v17
	v_add_f32_e32 v16, v16, v27
	v_fma_f32 v17, v30, s6, -v66
	v_add_f32_e32 v16, v16, v17
	v_fma_f32 v17, v35, s1, -v67
	;; [unrolled: 2-line block ×3, first 2 shown]
	v_fmac_f32_e32 v69, 0xbf27a4f4, v50
	v_add_f32_e32 v16, v16, v17
	v_add_f32_e32 v17, v69, v26
	v_fmac_f32_e32 v70, 0xbe11bafb, v53
	v_add_f32_e32 v17, v17, v70
	v_fmac_f32_e32 v71, 0x3f575c64, v56
	;; [unrolled: 2-line block ×3, first 2 shown]
	v_add_f32_e32 v18, v17, v72
	v_fma_f32 v17, v39, s5, -v73
	v_fmac_f32_e32 v74, 0x3ed4b147, v62
	v_add_f32_e32 v17, v16, v17
	v_add_f32_e32 v16, v18, v74
	v_fma_f32 v18, v28, s6, -v75
	v_add_f32_e32 v18, v18, v27
	v_fma_f32 v19, v30, s0, -v76
	;; [unrolled: 2-line block ×4, first 2 shown]
	v_fmac_f32_e32 v79, 0xbe11bafb, v50
	v_add_f32_e32 v18, v18, v19
	v_add_f32_e32 v19, v79, v26
	v_fmac_f32_e32 v80, 0xbf75a155, v53
	v_add_f32_e32 v19, v19, v80
	v_fmac_f32_e32 v81, 0x3ed4b147, v56
	v_add_f32_e32 v20, v19, v81
	v_fma_f32 v19, v39, s4, -v83
	v_fmac_f32_e32 v82, 0x3f575c64, v59
	v_add_f32_e32 v19, v18, v19
	v_add_f32_e32 v18, v20, v82
	v_fma_f32 v20, v28, s5, -v85
	v_fma_f32 v22, v28, s1, -v93
	v_add_f32_e32 v20, v20, v27
	v_fma_f32 v21, v30, s4, -v86
	v_add_f32_e32 v22, v22, v27
	;; [unrolled: 2-line block ×7, first 2 shown]
	v_fma_f32 v21, v39, s1, -v94
	v_fmac_f32_e32 v89, 0x3ed4b147, v50
	v_add_f32_e32 v22, v22, v23
	v_fma_f32 v23, v39, s0, -v99
	v_fmac_f32_e32 v51, 0x3f575c64, v50
	v_add_f32_e32 v21, v20, v21
	v_add_f32_e32 v20, v89, v26
	;; [unrolled: 1-line block ×4, first 2 shown]
	v_mad_u64_u32 v[26:27], s[0:1], s2, v34, 0
	v_fmac_f32_e32 v54, 0x3ed4b147, v53
	v_add_f32_e32 v22, v22, v54
	v_fmac_f32_e32 v57, 0xbe11bafb, v56
	v_add_f32_e32 v29, v22, v57
	v_mov_b32_e32 v22, v27
	v_fmac_f32_e32 v60, 0xbf27a4f4, v59
	v_mad_u64_u32 v[27:28], s[0:1], s3, v34, v[22:23]
	v_add_f32_e32 v22, v29, v60
	v_mov_b32_e32 v28, s11
	v_add_co_u32_e32 v29, vcc, s10, v0
	v_addc_co_u32_e32 v28, vcc, v28, v1, vcc
	v_lshlrev_b64 v[0:1], 3, v[24:25]
	v_add_u32_e32 v30, 0x6e, v34
	v_add_co_u32_e32 v29, vcc, v29, v0
	v_addc_co_u32_e32 v28, vcc, v28, v1, vcc
	v_lshlrev_b64 v[0:1], 3, v[26:27]
	v_add_u32_e32 v26, 55, v34
	v_mad_u64_u32 v[24:25], s[0:1], s2, v26, 0
	v_add_f32_e32 v12, v43, v12
	v_add_co_u32_e32 v0, vcc, v29, v0
	v_mad_u64_u32 v[25:26], s[0:1], s3, v26, v[25:26]
	v_mad_u64_u32 v[26:27], s[0:1], s2, v30, 0
	v_add_f32_e32 v12, v48, v12
	v_addc_co_u32_e32 v1, vcc, v28, v1, vcc
	global_store_dwordx2 v[0:1], v[12:13], off
	v_mov_b32_e32 v12, v27
	v_mad_u64_u32 v[12:13], s[0:1], s3, v30, v[12:13]
	v_lshlrev_b64 v[0:1], 3, v[24:25]
	v_add_u32_e32 v24, 0xdc, v34
	v_add_co_u32_e32 v0, vcc, v29, v0
	v_addc_co_u32_e32 v1, vcc, v28, v1, vcc
	v_mov_b32_e32 v27, v12
	v_add_u32_e32 v12, 0xa5, v34
	global_store_dwordx2 v[0:1], v[10:11], off
	v_mad_u64_u32 v[10:11], s[0:1], s2, v12, 0
	v_lshlrev_b64 v[0:1], 3, v[26:27]
	v_fmac_f32_e32 v84, 0xbf27a4f4, v62
	v_mad_u64_u32 v[11:12], s[0:1], s3, v12, v[11:12]
	v_mad_u64_u32 v[12:13], s[0:1], s2, v24, 0
	v_add_co_u32_e32 v0, vcc, v29, v0
	v_addc_co_u32_e32 v1, vcc, v28, v1, vcc
	global_store_dwordx2 v[0:1], v[8:9], off
	v_mov_b32_e32 v8, v13
	v_mad_u64_u32 v[8:9], s[0:1], s3, v24, v[8:9]
	v_lshlrev_b64 v[0:1], 3, v[10:11]
	v_add_u32_e32 v10, 0x14a, v34
	v_add_co_u32_e32 v0, vcc, v29, v0
	v_addc_co_u32_e32 v1, vcc, v28, v1, vcc
	v_mov_b32_e32 v13, v8
	v_add_u32_e32 v8, 0x113, v34
	global_store_dwordx2 v[0:1], v[6:7], off
	v_mad_u64_u32 v[6:7], s[0:1], s2, v8, 0
	v_lshlrev_b64 v[0:1], 3, v[12:13]
	v_add_f32_e32 v18, v18, v84
	v_mad_u64_u32 v[7:8], s[0:1], s3, v8, v[7:8]
	v_mad_u64_u32 v[8:9], s[0:1], s2, v10, 0
	v_add_co_u32_e32 v0, vcc, v29, v0
	v_addc_co_u32_e32 v1, vcc, v28, v1, vcc
	global_store_dwordx2 v[0:1], v[4:5], off
	v_mov_b32_e32 v4, v9
	v_mad_u64_u32 v[4:5], s[0:1], s3, v10, v[4:5]
	v_lshlrev_b64 v[0:1], 3, v[6:7]
	v_add_u32_e32 v6, 0x1b8, v34
	v_add_co_u32_e32 v0, vcc, v29, v0
	v_addc_co_u32_e32 v1, vcc, v28, v1, vcc
	v_mov_b32_e32 v9, v4
	v_add_u32_e32 v4, 0x181, v34
	global_store_dwordx2 v[0:1], v[2:3], off
	v_mad_u64_u32 v[2:3], s[0:1], s2, v4, 0
	v_lshlrev_b64 v[0:1], 3, v[8:9]
	v_fmac_f32_e32 v90, 0xbf27a4f4, v53
	v_mad_u64_u32 v[3:4], s[0:1], s3, v4, v[3:4]
	v_mad_u64_u32 v[4:5], s[0:1], s2, v6, 0
	v_add_co_u32_e32 v0, vcc, v29, v0
	v_addc_co_u32_e32 v1, vcc, v28, v1, vcc
	global_store_dwordx2 v[0:1], v[14:15], off
	v_lshlrev_b64 v[0:1], 3, v[2:3]
	v_mov_b32_e32 v2, v5
	v_mad_u64_u32 v[2:3], s[0:1], s3, v6, v[2:3]
	v_add_co_u32_e32 v0, vcc, v29, v0
	v_addc_co_u32_e32 v1, vcc, v28, v1, vcc
	v_mov_b32_e32 v5, v2
	global_store_dwordx2 v[0:1], v[16:17], off
	v_lshlrev_b64 v[0:1], 3, v[4:5]
	v_add_u32_e32 v4, 0x1ef, v34
	v_mad_u64_u32 v[2:3], s[0:1], s2, v4, 0
	v_add_u32_e32 v6, 0x226, v34
	v_add_co_u32_e32 v0, vcc, v29, v0
	v_mad_u64_u32 v[3:4], s[0:1], s3, v4, v[3:4]
	v_mad_u64_u32 v[4:5], s[0:1], s2, v6, 0
	v_addc_co_u32_e32 v1, vcc, v28, v1, vcc
	global_store_dwordx2 v[0:1], v[18:19], off
	v_lshlrev_b64 v[0:1], 3, v[2:3]
	v_mov_b32_e32 v2, v5
	v_mad_u64_u32 v[2:3], s[0:1], s3, v6, v[2:3]
	v_add_f32_e32 v20, v20, v90
	v_fmac_f32_e32 v91, 0xbf75a155, v56
	v_add_f32_e32 v20, v20, v91
	v_fmac_f32_e32 v92, 0xbe11bafb, v59
	;; [unrolled: 2-line block ×3, first 2 shown]
	v_add_co_u32_e32 v0, vcc, v29, v0
	v_add_f32_e32 v20, v20, v95
	v_addc_co_u32_e32 v1, vcc, v28, v1, vcc
	v_mov_b32_e32 v5, v2
	global_store_dwordx2 v[0:1], v[20:21], off
	v_lshlrev_b64 v[0:1], 3, v[4:5]
	v_fmac_f32_e32 v63, 0xbf75a155, v62
	v_add_co_u32_e32 v0, vcc, v29, v0
	v_add_f32_e32 v22, v22, v63
	v_addc_co_u32_e32 v1, vcc, v28, v1, vcc
	global_store_dwordx2 v[0:1], v[22:23], off
.LBB0_19:
	s_endpgm
	.section	.rodata,"a",@progbits
	.p2align	6, 0x0
	.amdhsa_kernel fft_rtc_fwd_len605_factors_11_5_11_wgs_55_tpt_55_sp_op_CI_CI_sbrr_dirReg
		.amdhsa_group_segment_fixed_size 0
		.amdhsa_private_segment_fixed_size 0
		.amdhsa_kernarg_size 104
		.amdhsa_user_sgpr_count 6
		.amdhsa_user_sgpr_private_segment_buffer 1
		.amdhsa_user_sgpr_dispatch_ptr 0
		.amdhsa_user_sgpr_queue_ptr 0
		.amdhsa_user_sgpr_kernarg_segment_ptr 1
		.amdhsa_user_sgpr_dispatch_id 0
		.amdhsa_user_sgpr_flat_scratch_init 0
		.amdhsa_user_sgpr_private_segment_size 0
		.amdhsa_uses_dynamic_stack 0
		.amdhsa_system_sgpr_private_segment_wavefront_offset 0
		.amdhsa_system_sgpr_workgroup_id_x 1
		.amdhsa_system_sgpr_workgroup_id_y 0
		.amdhsa_system_sgpr_workgroup_id_z 0
		.amdhsa_system_sgpr_workgroup_info 0
		.amdhsa_system_vgpr_workitem_id 0
		.amdhsa_next_free_vgpr 100
		.amdhsa_next_free_sgpr 32
		.amdhsa_reserve_vcc 1
		.amdhsa_reserve_flat_scratch 0
		.amdhsa_float_round_mode_32 0
		.amdhsa_float_round_mode_16_64 0
		.amdhsa_float_denorm_mode_32 3
		.amdhsa_float_denorm_mode_16_64 3
		.amdhsa_dx10_clamp 1
		.amdhsa_ieee_mode 1
		.amdhsa_fp16_overflow 0
		.amdhsa_exception_fp_ieee_invalid_op 0
		.amdhsa_exception_fp_denorm_src 0
		.amdhsa_exception_fp_ieee_div_zero 0
		.amdhsa_exception_fp_ieee_overflow 0
		.amdhsa_exception_fp_ieee_underflow 0
		.amdhsa_exception_fp_ieee_inexact 0
		.amdhsa_exception_int_div_zero 0
	.end_amdhsa_kernel
	.text
.Lfunc_end0:
	.size	fft_rtc_fwd_len605_factors_11_5_11_wgs_55_tpt_55_sp_op_CI_CI_sbrr_dirReg, .Lfunc_end0-fft_rtc_fwd_len605_factors_11_5_11_wgs_55_tpt_55_sp_op_CI_CI_sbrr_dirReg
                                        ; -- End function
	.section	.AMDGPU.csdata,"",@progbits
; Kernel info:
; codeLenInByte = 8884
; NumSgprs: 36
; NumVgprs: 100
; ScratchSize: 0
; MemoryBound: 0
; FloatMode: 240
; IeeeMode: 1
; LDSByteSize: 0 bytes/workgroup (compile time only)
; SGPRBlocks: 4
; VGPRBlocks: 24
; NumSGPRsForWavesPerEU: 36
; NumVGPRsForWavesPerEU: 100
; Occupancy: 2
; WaveLimiterHint : 1
; COMPUTE_PGM_RSRC2:SCRATCH_EN: 0
; COMPUTE_PGM_RSRC2:USER_SGPR: 6
; COMPUTE_PGM_RSRC2:TRAP_HANDLER: 0
; COMPUTE_PGM_RSRC2:TGID_X_EN: 1
; COMPUTE_PGM_RSRC2:TGID_Y_EN: 0
; COMPUTE_PGM_RSRC2:TGID_Z_EN: 0
; COMPUTE_PGM_RSRC2:TIDIG_COMP_CNT: 0
	.type	__hip_cuid_2fe3f3569c478091,@object ; @__hip_cuid_2fe3f3569c478091
	.section	.bss,"aw",@nobits
	.globl	__hip_cuid_2fe3f3569c478091
__hip_cuid_2fe3f3569c478091:
	.byte	0                               ; 0x0
	.size	__hip_cuid_2fe3f3569c478091, 1

	.ident	"AMD clang version 19.0.0git (https://github.com/RadeonOpenCompute/llvm-project roc-6.4.0 25133 c7fe45cf4b819c5991fe208aaa96edf142730f1d)"
	.section	".note.GNU-stack","",@progbits
	.addrsig
	.addrsig_sym __hip_cuid_2fe3f3569c478091
	.amdgpu_metadata
---
amdhsa.kernels:
  - .args:
      - .actual_access:  read_only
        .address_space:  global
        .offset:         0
        .size:           8
        .value_kind:     global_buffer
      - .offset:         8
        .size:           8
        .value_kind:     by_value
      - .actual_access:  read_only
        .address_space:  global
        .offset:         16
        .size:           8
        .value_kind:     global_buffer
      - .actual_access:  read_only
        .address_space:  global
        .offset:         24
        .size:           8
        .value_kind:     global_buffer
      - .actual_access:  read_only
        .address_space:  global
        .offset:         32
        .size:           8
        .value_kind:     global_buffer
      - .offset:         40
        .size:           8
        .value_kind:     by_value
      - .actual_access:  read_only
        .address_space:  global
        .offset:         48
        .size:           8
        .value_kind:     global_buffer
      - .actual_access:  read_only
        .address_space:  global
        .offset:         56
        .size:           8
        .value_kind:     global_buffer
      - .offset:         64
        .size:           4
        .value_kind:     by_value
      - .actual_access:  read_only
        .address_space:  global
        .offset:         72
        .size:           8
        .value_kind:     global_buffer
      - .actual_access:  read_only
        .address_space:  global
        .offset:         80
        .size:           8
        .value_kind:     global_buffer
      - .actual_access:  read_only
        .address_space:  global
        .offset:         88
        .size:           8
        .value_kind:     global_buffer
      - .actual_access:  write_only
        .address_space:  global
        .offset:         96
        .size:           8
        .value_kind:     global_buffer
    .group_segment_fixed_size: 0
    .kernarg_segment_align: 8
    .kernarg_segment_size: 104
    .language:       OpenCL C
    .language_version:
      - 2
      - 0
    .max_flat_workgroup_size: 55
    .name:           fft_rtc_fwd_len605_factors_11_5_11_wgs_55_tpt_55_sp_op_CI_CI_sbrr_dirReg
    .private_segment_fixed_size: 0
    .sgpr_count:     36
    .sgpr_spill_count: 0
    .symbol:         fft_rtc_fwd_len605_factors_11_5_11_wgs_55_tpt_55_sp_op_CI_CI_sbrr_dirReg.kd
    .uniform_work_group_size: 1
    .uses_dynamic_stack: false
    .vgpr_count:     100
    .vgpr_spill_count: 0
    .wavefront_size: 64
amdhsa.target:   amdgcn-amd-amdhsa--gfx906
amdhsa.version:
  - 1
  - 2
...

	.end_amdgpu_metadata
